;; amdgpu-corpus repo=ROCm/rocFFT kind=compiled arch=gfx1030 opt=O3
	.text
	.amdgcn_target "amdgcn-amd-amdhsa--gfx1030"
	.amdhsa_code_object_version 6
	.protected	fft_rtc_back_len1815_factors_11_3_5_11_wgs_165_tpt_165_dp_ip_CI_unitstride_sbrr_dirReg ; -- Begin function fft_rtc_back_len1815_factors_11_3_5_11_wgs_165_tpt_165_dp_ip_CI_unitstride_sbrr_dirReg
	.globl	fft_rtc_back_len1815_factors_11_3_5_11_wgs_165_tpt_165_dp_ip_CI_unitstride_sbrr_dirReg
	.p2align	8
	.type	fft_rtc_back_len1815_factors_11_3_5_11_wgs_165_tpt_165_dp_ip_CI_unitstride_sbrr_dirReg,@function
fft_rtc_back_len1815_factors_11_3_5_11_wgs_165_tpt_165_dp_ip_CI_unitstride_sbrr_dirReg: ; @fft_rtc_back_len1815_factors_11_3_5_11_wgs_165_tpt_165_dp_ip_CI_unitstride_sbrr_dirReg
; %bb.0:
	s_clause 0x2
	s_load_dwordx4 s[8:11], s[4:5], 0x0
	s_load_dwordx2 s[2:3], s[4:5], 0x50
	s_load_dwordx2 s[12:13], s[4:5], 0x18
	v_mul_u32_u24_e32 v1, 0x18e, v0
	v_mov_b32_e32 v3, 0
	v_add_nc_u32_sdwa v5, s6, v1 dst_sel:DWORD dst_unused:UNUSED_PAD src0_sel:DWORD src1_sel:WORD_1
	v_mov_b32_e32 v1, 0
	v_mov_b32_e32 v6, v3
	v_mov_b32_e32 v2, 0
	s_waitcnt lgkmcnt(0)
	v_cmp_lt_u64_e64 s0, s[10:11], 2
	s_and_b32 vcc_lo, exec_lo, s0
	s_cbranch_vccnz .LBB0_8
; %bb.1:
	s_load_dwordx2 s[0:1], s[4:5], 0x10
	v_mov_b32_e32 v1, 0
	s_add_u32 s6, s12, 8
	v_mov_b32_e32 v2, 0
	s_addc_u32 s7, s13, 0
	s_mov_b64 s[16:17], 1
	s_waitcnt lgkmcnt(0)
	s_add_u32 s14, s0, 8
	s_addc_u32 s15, s1, 0
.LBB0_2:                                ; =>This Inner Loop Header: Depth=1
	s_load_dwordx2 s[18:19], s[14:15], 0x0
                                        ; implicit-def: $vgpr7_vgpr8
	s_mov_b32 s0, exec_lo
	s_waitcnt lgkmcnt(0)
	v_or_b32_e32 v4, s19, v6
	v_cmpx_ne_u64_e32 0, v[3:4]
	s_xor_b32 s1, exec_lo, s0
	s_cbranch_execz .LBB0_4
; %bb.3:                                ;   in Loop: Header=BB0_2 Depth=1
	v_cvt_f32_u32_e32 v4, s18
	v_cvt_f32_u32_e32 v7, s19
	s_sub_u32 s0, 0, s18
	s_subb_u32 s20, 0, s19
	v_fmac_f32_e32 v4, 0x4f800000, v7
	v_rcp_f32_e32 v4, v4
	v_mul_f32_e32 v4, 0x5f7ffffc, v4
	v_mul_f32_e32 v7, 0x2f800000, v4
	v_trunc_f32_e32 v7, v7
	v_fmac_f32_e32 v4, 0xcf800000, v7
	v_cvt_u32_f32_e32 v7, v7
	v_cvt_u32_f32_e32 v4, v4
	v_mul_lo_u32 v8, s0, v7
	v_mul_hi_u32 v9, s0, v4
	v_mul_lo_u32 v10, s20, v4
	v_add_nc_u32_e32 v8, v9, v8
	v_mul_lo_u32 v9, s0, v4
	v_add_nc_u32_e32 v8, v8, v10
	v_mul_hi_u32 v10, v4, v9
	v_mul_lo_u32 v11, v4, v8
	v_mul_hi_u32 v12, v4, v8
	v_mul_hi_u32 v13, v7, v9
	v_mul_lo_u32 v9, v7, v9
	v_mul_hi_u32 v14, v7, v8
	v_mul_lo_u32 v8, v7, v8
	v_add_co_u32 v10, vcc_lo, v10, v11
	v_add_co_ci_u32_e32 v11, vcc_lo, 0, v12, vcc_lo
	v_add_co_u32 v9, vcc_lo, v10, v9
	v_add_co_ci_u32_e32 v9, vcc_lo, v11, v13, vcc_lo
	v_add_co_ci_u32_e32 v10, vcc_lo, 0, v14, vcc_lo
	v_add_co_u32 v8, vcc_lo, v9, v8
	v_add_co_ci_u32_e32 v9, vcc_lo, 0, v10, vcc_lo
	v_add_co_u32 v4, vcc_lo, v4, v8
	v_add_co_ci_u32_e32 v7, vcc_lo, v7, v9, vcc_lo
	v_mul_hi_u32 v8, s0, v4
	v_mul_lo_u32 v10, s20, v4
	v_mul_lo_u32 v9, s0, v7
	v_add_nc_u32_e32 v8, v8, v9
	v_mul_lo_u32 v9, s0, v4
	v_add_nc_u32_e32 v8, v8, v10
	v_mul_hi_u32 v10, v4, v9
	v_mul_lo_u32 v11, v4, v8
	v_mul_hi_u32 v12, v4, v8
	v_mul_hi_u32 v13, v7, v9
	v_mul_lo_u32 v9, v7, v9
	v_mul_hi_u32 v14, v7, v8
	v_mul_lo_u32 v8, v7, v8
	v_add_co_u32 v10, vcc_lo, v10, v11
	v_add_co_ci_u32_e32 v11, vcc_lo, 0, v12, vcc_lo
	v_add_co_u32 v9, vcc_lo, v10, v9
	v_add_co_ci_u32_e32 v9, vcc_lo, v11, v13, vcc_lo
	v_add_co_ci_u32_e32 v10, vcc_lo, 0, v14, vcc_lo
	v_add_co_u32 v8, vcc_lo, v9, v8
	v_add_co_ci_u32_e32 v9, vcc_lo, 0, v10, vcc_lo
	v_add_co_u32 v4, vcc_lo, v4, v8
	v_add_co_ci_u32_e32 v11, vcc_lo, v7, v9, vcc_lo
	v_mul_hi_u32 v13, v5, v4
	v_mad_u64_u32 v[9:10], null, v6, v4, 0
	v_mad_u64_u32 v[7:8], null, v5, v11, 0
	;; [unrolled: 1-line block ×3, first 2 shown]
	v_add_co_u32 v4, vcc_lo, v13, v7
	v_add_co_ci_u32_e32 v7, vcc_lo, 0, v8, vcc_lo
	v_add_co_u32 v4, vcc_lo, v4, v9
	v_add_co_ci_u32_e32 v4, vcc_lo, v7, v10, vcc_lo
	v_add_co_ci_u32_e32 v7, vcc_lo, 0, v12, vcc_lo
	v_add_co_u32 v4, vcc_lo, v4, v11
	v_add_co_ci_u32_e32 v9, vcc_lo, 0, v7, vcc_lo
	v_mul_lo_u32 v10, s19, v4
	v_mad_u64_u32 v[7:8], null, s18, v4, 0
	v_mul_lo_u32 v11, s18, v9
	v_sub_co_u32 v7, vcc_lo, v5, v7
	v_add3_u32 v8, v8, v11, v10
	v_sub_nc_u32_e32 v10, v6, v8
	v_subrev_co_ci_u32_e64 v10, s0, s19, v10, vcc_lo
	v_add_co_u32 v11, s0, v4, 2
	v_add_co_ci_u32_e64 v12, s0, 0, v9, s0
	v_sub_co_u32 v13, s0, v7, s18
	v_sub_co_ci_u32_e32 v8, vcc_lo, v6, v8, vcc_lo
	v_subrev_co_ci_u32_e64 v10, s0, 0, v10, s0
	v_cmp_le_u32_e32 vcc_lo, s18, v13
	v_cmp_eq_u32_e64 s0, s19, v8
	v_cndmask_b32_e64 v13, 0, -1, vcc_lo
	v_cmp_le_u32_e32 vcc_lo, s19, v10
	v_cndmask_b32_e64 v14, 0, -1, vcc_lo
	v_cmp_le_u32_e32 vcc_lo, s18, v7
	;; [unrolled: 2-line block ×3, first 2 shown]
	v_cndmask_b32_e64 v15, 0, -1, vcc_lo
	v_cmp_eq_u32_e32 vcc_lo, s19, v10
	v_cndmask_b32_e64 v7, v15, v7, s0
	v_cndmask_b32_e32 v10, v14, v13, vcc_lo
	v_add_co_u32 v13, vcc_lo, v4, 1
	v_add_co_ci_u32_e32 v14, vcc_lo, 0, v9, vcc_lo
	v_cmp_ne_u32_e32 vcc_lo, 0, v10
	v_cndmask_b32_e32 v8, v14, v12, vcc_lo
	v_cndmask_b32_e32 v10, v13, v11, vcc_lo
	v_cmp_ne_u32_e32 vcc_lo, 0, v7
	v_cndmask_b32_e32 v8, v9, v8, vcc_lo
	v_cndmask_b32_e32 v7, v4, v10, vcc_lo
.LBB0_4:                                ;   in Loop: Header=BB0_2 Depth=1
	s_andn2_saveexec_b32 s0, s1
	s_cbranch_execz .LBB0_6
; %bb.5:                                ;   in Loop: Header=BB0_2 Depth=1
	v_cvt_f32_u32_e32 v4, s18
	s_sub_i32 s1, 0, s18
	v_rcp_iflag_f32_e32 v4, v4
	v_mul_f32_e32 v4, 0x4f7ffffe, v4
	v_cvt_u32_f32_e32 v4, v4
	v_mul_lo_u32 v7, s1, v4
	v_mul_hi_u32 v7, v4, v7
	v_add_nc_u32_e32 v4, v4, v7
	v_mul_hi_u32 v4, v5, v4
	v_mul_lo_u32 v7, v4, s18
	v_add_nc_u32_e32 v8, 1, v4
	v_sub_nc_u32_e32 v7, v5, v7
	v_subrev_nc_u32_e32 v9, s18, v7
	v_cmp_le_u32_e32 vcc_lo, s18, v7
	v_cndmask_b32_e32 v7, v7, v9, vcc_lo
	v_cndmask_b32_e32 v4, v4, v8, vcc_lo
	v_cmp_le_u32_e32 vcc_lo, s18, v7
	v_add_nc_u32_e32 v8, 1, v4
	v_cndmask_b32_e32 v7, v4, v8, vcc_lo
	v_mov_b32_e32 v8, v3
.LBB0_6:                                ;   in Loop: Header=BB0_2 Depth=1
	s_or_b32 exec_lo, exec_lo, s0
	s_load_dwordx2 s[0:1], s[6:7], 0x0
	v_mul_lo_u32 v4, v8, s18
	v_mul_lo_u32 v11, v7, s19
	v_mad_u64_u32 v[9:10], null, v7, s18, 0
	s_add_u32 s16, s16, 1
	s_addc_u32 s17, s17, 0
	s_add_u32 s6, s6, 8
	s_addc_u32 s7, s7, 0
	;; [unrolled: 2-line block ×3, first 2 shown]
	v_add3_u32 v4, v10, v11, v4
	v_sub_co_u32 v5, vcc_lo, v5, v9
	v_sub_co_ci_u32_e32 v4, vcc_lo, v6, v4, vcc_lo
	s_waitcnt lgkmcnt(0)
	v_mul_lo_u32 v6, s1, v5
	v_mul_lo_u32 v4, s0, v4
	v_mad_u64_u32 v[1:2], null, s0, v5, v[1:2]
	v_cmp_ge_u64_e64 s0, s[16:17], s[10:11]
	s_and_b32 vcc_lo, exec_lo, s0
	v_add3_u32 v2, v6, v2, v4
	s_cbranch_vccnz .LBB0_9
; %bb.7:                                ;   in Loop: Header=BB0_2 Depth=1
	v_mov_b32_e32 v5, v7
	v_mov_b32_e32 v6, v8
	s_branch .LBB0_2
.LBB0_8:
	v_mov_b32_e32 v8, v6
	v_mov_b32_e32 v7, v5
.LBB0_9:
	s_lshl_b64 s[0:1], s[10:11], 3
	v_mul_hi_u32 v5, 0x18d3019, v0
	s_add_u32 s0, s12, s0
	s_addc_u32 s1, s13, s1
	v_mov_b32_e32 v82, 0
	s_load_dwordx2 s[0:1], s[0:1], 0x0
	s_load_dwordx2 s[4:5], s[4:5], 0x20
	v_mov_b32_e32 v83, 0
                                        ; implicit-def: $vgpr10_vgpr11
                                        ; implicit-def: $vgpr14_vgpr15
                                        ; implicit-def: $vgpr18_vgpr19
                                        ; implicit-def: $vgpr22_vgpr23
                                        ; implicit-def: $vgpr26_vgpr27
                                        ; implicit-def: $vgpr30_vgpr31
                                        ; implicit-def: $vgpr34_vgpr35
                                        ; implicit-def: $vgpr38_vgpr39
                                        ; implicit-def: $vgpr42_vgpr43
	s_waitcnt lgkmcnt(0)
	v_mul_lo_u32 v3, s0, v8
	v_mul_lo_u32 v4, s1, v7
	v_mad_u64_u32 v[1:2], null, s0, v7, v[1:2]
	v_cmp_gt_u64_e32 vcc_lo, s[4:5], v[7:8]
                                        ; implicit-def: $vgpr6_vgpr7
	v_add3_u32 v2, v4, v2, v3
	v_mul_u32_u24_e32 v3, 0xa5, v5
	v_lshlrev_b64 v[80:81], 4, v[1:2]
	v_sub_nc_u32_e32 v60, v0, v3
                                        ; implicit-def: $vgpr2_vgpr3
	s_and_saveexec_b32 s1, vcc_lo
	s_cbranch_execz .LBB0_11
; %bb.10:
	v_mov_b32_e32 v61, 0
	v_add_co_u32 v2, s0, s2, v80
	v_add_co_ci_u32_e64 v3, s0, s3, v81, s0
	v_lshlrev_b64 v[0:1], 4, v[60:61]
	v_mov_b32_e32 v83, v61
	v_mov_b32_e32 v82, v60
	v_add_co_u32 v0, s0, v2, v0
	v_add_co_ci_u32_e64 v1, s0, v3, v1, s0
	v_add_co_u32 v2, s0, 0x800, v0
	v_add_co_ci_u32_e64 v3, s0, 0, v1, s0
	v_add_co_u32 v8, s0, 0x1000, v0
	v_add_co_ci_u32_e64 v9, s0, 0, v1, s0
	v_add_co_u32 v10, s0, 0x1800, v0
	v_add_co_ci_u32_e64 v11, s0, 0, v1, s0
	v_add_co_u32 v12, s0, 0x2800, v0
	v_add_co_ci_u32_e64 v13, s0, 0, v1, s0
	v_add_co_u32 v14, s0, 0x3000, v0
	v_add_co_ci_u32_e64 v15, s0, 0, v1, s0
	s_clause 0x5
	global_load_dwordx4 v[4:7], v[0:1], off
	global_load_dwordx4 v[40:43], v[2:3], off offset:592
	global_load_dwordx4 v[36:39], v[8:9], off offset:1184
	;; [unrolled: 1-line block ×5, first 2 shown]
	v_add_co_u32 v2, s0, 0x3800, v0
	v_add_co_ci_u32_e64 v3, s0, 0, v1, s0
	v_add_co_u32 v8, s0, 0x4800, v0
	v_add_co_ci_u32_e64 v9, s0, 0, v1, s0
	;; [unrolled: 2-line block ×5, first 2 shown]
	s_clause 0x4
	global_load_dwordx4 v[20:23], v[2:3], off offset:1504
	global_load_dwordx4 v[16:19], v[8:9], off offset:48
	;; [unrolled: 1-line block ×5, first 2 shown]
.LBB0_11:
	s_or_b32 exec_lo, exec_lo, s1
	s_waitcnt vmcnt(9)
	v_add_f64 v[52:53], v[40:41], v[4:5]
	v_add_f64 v[54:55], v[42:43], v[6:7]
	s_waitcnt vmcnt(0)
	v_add_f64 v[56:57], v[40:41], -v[0:1]
	v_add_f64 v[58:59], v[42:43], -v[2:3]
	v_add_f64 v[46:47], v[12:13], v[32:33]
	v_add_f64 v[48:49], v[14:15], v[34:35]
	v_add_f64 v[65:66], v[32:33], -v[12:13]
	v_add_f64 v[67:68], v[34:35], -v[14:15]
	s_mov_b32 s16, 0xf8bb580b
	s_mov_b32 s4, 0x43842ef
	;; [unrolled: 1-line block ×4, first 2 shown]
	v_add_f64 v[50:51], v[0:1], v[40:41]
	v_add_f64 v[44:45], v[2:3], v[42:43]
	;; [unrolled: 1-line block ×4, first 2 shown]
	v_add_f64 v[61:62], v[36:37], -v[8:9]
	v_add_f64 v[63:64], v[38:39], -v[10:11]
	;; [unrolled: 1-line block ×4, first 2 shown]
	s_mov_b32 s22, 0xfd768dbf
	s_mov_b32 s10, 0x8764f0ba
	v_add_f64 v[52:53], v[36:37], v[52:53]
	v_add_f64 v[54:55], v[38:39], v[54:55]
	;; [unrolled: 1-line block ×4, first 2 shown]
	v_mul_f64 v[86:87], v[58:59], s[4:5]
	v_mul_f64 v[90:91], v[56:57], s[16:17]
	;; [unrolled: 1-line block ×3, first 2 shown]
	s_mov_b32 s18, 0x640f44db
	s_mov_b32 s1, 0xbfed1bb4
	;; [unrolled: 1-line block ×8, first 2 shown]
	v_add_f64 v[73:74], v[20:21], v[24:25]
	v_add_f64 v[75:76], v[22:23], v[26:27]
	v_add_f64 v[77:78], v[24:25], -v[20:21]
	v_add_f64 v[84:85], v[26:27], -v[22:23]
	v_mul_f64 v[92:93], v[56:57], s[0:1]
	v_mul_f64 v[98:99], v[63:64], s[0:1]
	;; [unrolled: 1-line block ×3, first 2 shown]
	v_add_f64 v[32:33], v[32:33], v[52:53]
	v_add_f64 v[34:35], v[34:35], v[54:55]
	v_mul_f64 v[52:53], v[58:59], s[16:17]
	v_mul_f64 v[54:55], v[58:59], s[0:1]
	v_mul_f64 v[126:127], v[63:64], s[26:27]
	v_mul_f64 v[128:129], v[61:62], s[26:27]
	v_fma_f64 v[136:137], v[44:45], s[10:11], -v[90:91]
	v_fma_f64 v[150:151], v[50:51], s[18:19], v[86:87]
	v_fma_f64 v[154:155], v[44:45], s[18:19], -v[94:95]
	s_mov_b32 s6, 0xbb3a28a1
	s_mov_b32 s20, 0xd9c712b6
	;; [unrolled: 1-line block ×7, first 2 shown]
	v_mul_f64 v[88:89], v[58:59], s[6:7]
	v_mul_f64 v[58:59], v[58:59], s[22:23]
	;; [unrolled: 1-line block ×6, first 2 shown]
	v_add_f64 v[28:29], v[28:29], v[32:33]
	v_add_f64 v[30:31], v[30:31], v[34:35]
	v_fma_f64 v[134:135], v[50:51], s[10:11], v[52:53]
	v_mul_f64 v[32:33], v[65:66], s[4:5]
	v_mul_f64 v[112:113], v[61:62], s[6:7]
	;; [unrolled: 1-line block ×4, first 2 shown]
	v_fma_f64 v[146:147], v[50:51], s[20:21], v[54:55]
	v_fma_f64 v[148:149], v[44:45], s[20:21], -v[92:93]
	v_fma_f64 v[156:157], v[40:41], s[20:21], v[98:99]
	v_fma_f64 v[158:159], v[42:43], s[20:21], -v[100:101]
	v_add_f64 v[136:137], v[6:7], v[136:137]
	v_fma_f64 v[166:167], v[40:41], s[14:15], v[126:127]
	v_fma_f64 v[168:169], v[42:43], s[14:15], -v[128:129]
	v_add_f64 v[150:151], v[4:5], v[150:151]
	v_add_f64 v[154:155], v[6:7], v[154:155]
	s_mov_b32 s12, 0x7f775887
	s_mov_b32 s13, 0xbfe4f49e
	;; [unrolled: 1-line block ×4, first 2 shown]
	v_mul_f64 v[34:35], v[71:72], s[6:7]
	v_mul_f64 v[104:105], v[69:70], s[6:7]
	v_add_f64 v[24:25], v[24:25], v[28:29]
	v_add_f64 v[26:27], v[26:27], v[30:31]
	;; [unrolled: 1-line block ×3, first 2 shown]
	v_mul_f64 v[130:131], v[71:72], s[16:17]
	v_mul_f64 v[132:133], v[69:70], s[16:17]
	v_mul_f64 v[28:29], v[63:64], s[28:29]
	v_mul_f64 v[30:31], v[61:62], s[28:29]
	v_fma_f64 v[52:53], v[50:51], s[10:11], -v[52:53]
	v_fma_f64 v[54:55], v[50:51], s[20:21], -v[54:55]
	;; [unrolled: 1-line block ×3, first 2 shown]
	v_fma_f64 v[152:153], v[50:51], s[12:13], v[88:89]
	v_add_f64 v[146:147], v[4:5], v[146:147]
	v_add_f64 v[148:149], v[6:7], v[148:149]
	v_fma_f64 v[160:161], v[44:45], s[12:13], -v[96:97]
	v_fma_f64 v[96:97], v[44:45], s[12:13], v[96:97]
	v_fma_f64 v[162:163], v[46:47], s[18:19], v[102:103]
	v_fma_f64 v[164:165], v[48:49], s[18:19], -v[32:33]
	v_add_f64 v[136:137], v[158:159], v[136:137]
	v_fma_f64 v[178:179], v[46:47], s[20:21], v[142:143]
	v_fma_f64 v[180:181], v[48:49], s[20:21], -v[144:145]
	v_add_f64 v[150:151], v[166:167], v[150:151]
	v_add_f64 v[154:155], v[168:169], v[154:155]
	;; [unrolled: 1-line block ×4, first 2 shown]
	v_fma_f64 v[24:25], v[50:51], s[12:13], -v[88:89]
	v_fma_f64 v[26:27], v[50:51], s[14:15], v[58:59]
	v_fma_f64 v[50:51], v[50:51], s[14:15], -v[58:59]
	v_fma_f64 v[58:59], v[44:45], s[10:11], v[90:91]
	v_fma_f64 v[88:89], v[44:45], s[20:21], v[92:93]
	;; [unrolled: 1-line block ×4, first 2 shown]
	v_fma_f64 v[94:95], v[42:43], s[12:13], -v[112:113]
	v_add_f64 v[134:135], v[156:157], v[134:135]
	s_mov_b32 s25, 0x3fe14ced
	s_mov_b32 s24, s16
	v_mul_f64 v[116:117], v[65:66], s[26:27]
	v_mul_f64 v[138:139], v[67:68], s[16:17]
	;; [unrolled: 1-line block ×5, first 2 shown]
	v_fma_f64 v[174:175], v[40:41], s[18:19], v[28:29]
	v_fma_f64 v[176:177], v[42:43], s[18:19], -v[30:31]
	v_add_f64 v[136:137], v[164:165], v[136:137]
	v_add_f64 v[54:55], v[4:5], v[54:55]
	;; [unrolled: 1-line block ×4, first 2 shown]
	v_fma_f64 v[20:21], v[44:45], s[14:15], -v[56:57]
	v_fma_f64 v[22:23], v[44:45], s[14:15], v[56:57]
	v_fma_f64 v[44:45], v[36:37], s[12:13], v[34:35]
	v_fma_f64 v[56:57], v[38:39], s[12:13], -v[104:105]
	v_add_f64 v[88:89], v[6:7], v[88:89]
	v_add_f64 v[86:87], v[4:5], v[86:87]
	;; [unrolled: 1-line block ×4, first 2 shown]
	v_fma_f64 v[146:147], v[36:37], s[10:11], v[130:131]
	v_fma_f64 v[148:149], v[38:39], s[10:11], -v[132:133]
	v_add_f64 v[134:135], v[162:163], v[134:135]
	v_add_f64 v[90:91], v[6:7], v[90:91]
	;; [unrolled: 1-line block ×5, first 2 shown]
	v_mul_f64 v[114:115], v[67:68], s[26:27]
	v_fma_f64 v[158:159], v[48:49], s[14:15], -v[116:117]
	v_fma_f64 v[28:29], v[40:41], s[18:19], -v[28:29]
	v_fma_f64 v[30:31], v[42:43], s[18:19], v[30:31]
	v_mul_f64 v[67:68], v[67:68], s[6:7]
	v_add_f64 v[12:13], v[12:13], v[16:17]
	v_add_f64 v[14:15], v[14:15], v[18:19]
	v_add_f64 v[16:17], v[4:5], v[52:53]
	v_add_f64 v[18:19], v[6:7], v[58:59]
	v_add_f64 v[52:53], v[4:5], v[152:153]
	v_add_f64 v[58:59], v[6:7], v[160:161]
	v_add_f64 v[20:21], v[6:7], v[20:21]
	v_add_f64 v[4:5], v[4:5], v[50:51]
	v_add_f64 v[6:7], v[6:7], v[22:23]
	v_add_f64 v[22:23], v[178:179], v[150:151]
	v_add_f64 v[50:51], v[180:181], v[154:155]
	v_add_f64 v[56:57], v[56:57], v[136:137]
	v_add_f64 v[44:45], v[44:45], v[134:135]
	v_fma_f64 v[134:135], v[46:47], s[10:11], v[138:139]
	v_fma_f64 v[136:137], v[48:49], s[10:11], -v[140:141]
	v_mul_f64 v[65:66], v[65:66], s[6:7]
	v_fma_f64 v[98:99], v[40:41], s[20:21], -v[98:99]
	v_fma_f64 v[100:101], v[42:43], s[20:21], v[100:101]
	v_fma_f64 v[110:111], v[40:41], s[12:13], -v[110:111]
	v_fma_f64 v[112:113], v[42:43], s[12:13], v[112:113]
	v_mul_f64 v[118:119], v[71:72], s[28:29]
	v_mul_f64 v[120:121], v[69:70], s[28:29]
	v_fma_f64 v[156:157], v[46:47], s[14:15], v[114:115]
	v_add_f64 v[94:95], v[158:159], v[94:95]
	v_mul_f64 v[158:159], v[71:72], s[22:23]
	v_mul_f64 v[160:161], v[69:70], s[22:23]
	v_add_f64 v[52:53], v[174:175], v[52:53]
	v_add_f64 v[58:59], v[176:177], v[58:59]
	v_add_f64 v[24:25], v[28:29], v[24:25]
	v_add_f64 v[28:29], v[30:31], v[96:97]
	v_fma_f64 v[30:31], v[46:47], s[10:11], -v[138:139]
	v_add_f64 v[22:23], v[146:147], v[22:23]
	v_add_f64 v[50:51], v[148:149], v[50:51]
	v_fma_f64 v[146:147], v[40:41], s[10:11], v[63:64]
	v_fma_f64 v[148:149], v[42:43], s[10:11], -v[61:62]
	v_fma_f64 v[63:64], v[40:41], s[10:11], -v[63:64]
	v_fma_f64 v[61:62], v[42:43], s[10:11], v[61:62]
	v_fma_f64 v[40:41], v[40:41], s[14:15], -v[126:127]
	v_fma_f64 v[42:43], v[42:43], s[14:15], v[128:129]
	v_fma_f64 v[96:97], v[48:49], s[10:11], v[140:141]
	v_mul_f64 v[71:72], v[71:72], s[0:1]
	v_mul_f64 v[69:70], v[69:70], s[0:1]
	v_add_f64 v[16:17], v[98:99], v[16:17]
	v_add_f64 v[18:19], v[100:101], v[18:19]
	;; [unrolled: 1-line block ×3, first 2 shown]
	v_fma_f64 v[32:33], v[48:49], s[18:19], v[32:33]
	v_mul_f64 v[106:107], v[84:85], s[22:23]
	v_mul_f64 v[108:109], v[77:78], s[22:23]
	v_add_f64 v[52:53], v[134:135], v[52:53]
	v_add_f64 v[58:59], v[136:137], v[58:59]
	v_fma_f64 v[134:135], v[46:47], s[12:13], v[67:68]
	v_fma_f64 v[136:137], v[48:49], s[12:13], -v[65:66]
	v_mul_f64 v[122:123], v[84:85], s[24:25]
	v_mul_f64 v[124:125], v[77:78], s[24:25]
	v_add_f64 v[8:9], v[8:9], v[12:13]
	v_add_f64 v[26:27], v[146:147], v[26:27]
	;; [unrolled: 1-line block ×5, first 2 shown]
	v_fma_f64 v[61:62], v[46:47], s[12:13], -v[67:68]
	v_fma_f64 v[63:64], v[48:49], s[12:13], v[65:66]
	v_add_f64 v[65:66], v[112:113], v[88:89]
	v_add_f64 v[40:41], v[40:41], v[86:87]
	;; [unrolled: 1-line block ×3, first 2 shown]
	v_fma_f64 v[67:68], v[46:47], s[18:19], -v[102:103]
	v_fma_f64 v[86:87], v[46:47], s[14:15], -v[114:115]
	v_fma_f64 v[88:89], v[48:49], s[14:15], v[116:117]
	v_fma_f64 v[46:47], v[46:47], s[20:21], -v[142:143]
	v_fma_f64 v[48:49], v[48:49], s[20:21], v[144:145]
	v_add_f64 v[10:11], v[10:11], v[14:15]
	v_mul_f64 v[12:13], v[84:85], s[6:7]
	v_mul_f64 v[14:15], v[77:78], s[6:7]
	v_mul_f64 v[90:91], v[84:85], s[0:1]
	v_mul_f64 v[98:99], v[77:78], s[0:1]
	v_add_f64 v[28:29], v[96:97], v[28:29]
	v_fma_f64 v[96:97], v[38:39], s[14:15], v[160:161]
	v_fma_f64 v[100:101], v[36:37], s[20:21], v[71:72]
	v_add_f64 v[26:27], v[134:135], v[26:27]
	v_add_f64 v[20:21], v[136:137], v[20:21]
	v_fma_f64 v[102:103], v[38:39], s[20:21], -v[69:70]
	v_mul_f64 v[84:85], v[84:85], s[4:5]
	v_mul_f64 v[77:78], v[77:78], s[4:5]
	v_add_f64 v[18:19], v[32:33], v[18:19]
	v_fma_f64 v[34:35], v[36:37], s[12:13], -v[34:35]
	v_fma_f64 v[170:171], v[36:37], s[18:19], v[118:119]
	v_fma_f64 v[172:173], v[38:39], s[18:19], -v[120:121]
	v_add_f64 v[16:17], v[67:68], v[16:17]
	v_add_f64 v[32:33], v[86:87], v[54:55]
	;; [unrolled: 1-line block ×5, first 2 shown]
	v_fma_f64 v[46:47], v[38:39], s[12:13], v[104:105]
	v_fma_f64 v[48:49], v[36:37], s[18:19], -v[118:119]
	v_fma_f64 v[65:66], v[38:39], s[18:19], v[120:121]
	v_add_f64 v[92:93], v[156:157], v[92:93]
	v_fma_f64 v[126:127], v[36:37], s[14:15], v[158:159]
	v_fma_f64 v[128:129], v[38:39], s[14:15], -v[160:161]
	v_add_f64 v[4:5], v[61:62], v[4:5]
	v_add_f64 v[6:7], v[63:64], v[6:7]
	v_fma_f64 v[61:62], v[36:37], s[20:21], -v[71:72]
	v_fma_f64 v[63:64], v[38:39], s[20:21], v[69:70]
	v_add_f64 v[24:25], v[30:31], v[24:25]
	v_fma_f64 v[30:31], v[36:37], s[14:15], -v[158:159]
	v_fma_f64 v[36:37], v[36:37], s[10:11], -v[130:131]
	v_fma_f64 v[38:39], v[38:39], s[10:11], v[132:133]
	v_fma_f64 v[150:151], v[73:74], s[14:15], v[106:107]
	v_fma_f64 v[152:153], v[75:76], s[14:15], -v[108:109]
	v_fma_f64 v[154:155], v[73:74], s[10:11], v[122:123]
	v_fma_f64 v[156:157], v[75:76], s[10:11], -v[124:125]
	;; [unrolled: 2-line block ×4, first 2 shown]
	v_add_f64 v[71:72], v[96:97], v[28:29]
	v_fma_f64 v[28:29], v[73:74], s[20:21], -v[90:91]
	v_fma_f64 v[86:87], v[75:76], s[20:21], v[98:99]
	v_add_f64 v[88:89], v[100:101], v[26:27]
	v_add_f64 v[90:91], v[102:103], v[20:21]
	v_fma_f64 v[96:97], v[73:74], s[18:19], v[84:85]
	v_fma_f64 v[98:99], v[75:76], s[18:19], -v[77:78]
	v_fma_f64 v[84:85], v[73:74], s[18:19], -v[84:85]
	v_fma_f64 v[77:78], v[75:76], s[18:19], v[77:78]
	v_add_f64 v[16:17], v[34:35], v[16:17]
	v_add_f64 v[18:19], v[46:47], v[18:19]
	;; [unrolled: 1-line block ×4, first 2 shown]
	v_fma_f64 v[54:55], v[73:74], s[10:11], -v[122:123]
	v_fma_f64 v[65:66], v[73:74], s[12:13], -v[12:13]
	v_fma_f64 v[100:101], v[75:76], s[12:13], v[14:15]
	v_fma_f64 v[102:103], v[75:76], s[10:11], v[124:125]
	v_fma_f64 v[73:74], v[73:74], s[14:15], -v[106:107]
	v_fma_f64 v[75:76], v[75:76], s[14:15], v[108:109]
	v_add_f64 v[92:93], v[170:171], v[92:93]
	v_add_f64 v[94:95], v[172:173], v[94:95]
	v_add_f64 v[52:53], v[126:127], v[52:53]
	v_add_f64 v[58:59], v[128:129], v[58:59]
	v_add_f64 v[61:62], v[61:62], v[4:5]
	v_add_f64 v[63:64], v[63:64], v[6:7]
	v_add_f64 v[30:31], v[30:31], v[24:25]
	v_add_f64 v[40:41], v[36:37], v[40:41]
	v_add_f64 v[42:43], v[38:39], v[42:43]
	v_add_f64 v[0:1], v[0:1], v[8:9]
	v_add_f64 v[2:3], v[2:3], v[10:11]
	v_add_f64 v[4:5], v[150:151], v[44:45]
	v_add_f64 v[6:7], v[152:153], v[56:57]
	v_add_f64 v[20:21], v[162:163], v[22:23]
	v_add_f64 v[22:23], v[164:165], v[50:51]
	v_add_f64 v[32:33], v[96:97], v[88:89]
	v_add_f64 v[34:35], v[98:99], v[90:91]
	v_add_f64 v[8:9], v[54:55], v[46:47]
	v_mad_u32_u24 v44, 0xb0, v60, 0
	v_add_f64 v[10:11], v[102:103], v[48:49]
	v_add_f64 v[16:17], v[73:74], v[16:17]
	;; [unrolled: 1-line block ×13, first 2 shown]
	v_mad_i32_i24 v61, 0xffffff60, v60, v44
	ds_write_b128 v44, v[0:3]
	ds_write_b128 v44, v[4:7] offset:16
	ds_write_b128 v44, v[12:15] offset:32
	;; [unrolled: 1-line block ×10, first 2 shown]
	s_waitcnt lgkmcnt(0)
	s_barrier
	buffer_gl0_inv
	ds_read_b128 v[4:7], v61
	ds_read_b128 v[12:15], v61 offset:2640
	ds_read_b128 v[20:23], v61 offset:19360
	;; [unrolled: 1-line block ×8, first 2 shown]
	v_cmp_gt_u32_e64 s0, 0x6e, v60
                                        ; implicit-def: $vgpr46_vgpr47
	s_and_saveexec_b32 s1, s0
	s_cbranch_execz .LBB0_13
; %bb.12:
	ds_read_b128 v[8:11], v61 offset:7920
	ds_read_b128 v[16:19], v61 offset:17600
	;; [unrolled: 1-line block ×3, first 2 shown]
.LBB0_13:
	s_or_b32 exec_lo, exec_lo, s1
	v_and_b32_e32 v64, 0xff, v60
	v_mov_b32_e32 v50, 0xba2f
	v_add_nc_u32_e32 v62, 0x14a, v60
	v_add_nc_u32_e32 v63, 0xa5, v60
	v_mov_b32_e32 v58, 5
	v_mul_lo_u16 v48, 0x75, v64
	s_mov_b32 s4, 0xe8584caa
	v_mul_u32_u24_sdwa v52, v62, v50 dst_sel:DWORD dst_unused:UNUSED_PAD src0_sel:WORD_0 src1_sel:DWORD
	v_mul_u32_u24_sdwa v51, v63, v50 dst_sel:DWORD dst_unused:UNUSED_PAD src0_sel:WORD_0 src1_sel:DWORD
	s_mov_b32 s5, 0xbfebb67a
	v_lshrrev_b16 v48, 8, v48
	s_mov_b32 s7, 0x3febb67a
	v_lshrrev_b32_e32 v108, 19, v52
	v_lshrrev_b32_e32 v79, 19, v51
	s_mov_b32 s6, s4
	v_sub_nc_u16 v49, v60, v48
	v_mul_lo_u16 v51, v79, 11
	v_mul_u32_u24_e32 v79, 0x210, v79
	v_lshrrev_b16 v49, 1, v49
	v_sub_nc_u16 v110, v63, v51
	v_and_b32_e32 v49, 0x7f, v49
	v_lshlrev_b32_sdwa v54, v58, v110 dst_sel:DWORD dst_unused:UNUSED_PAD src0_sel:DWORD src1_sel:WORD_0
	v_add_nc_u16 v48, v49, v48
	v_add_nc_u32_e32 v49, 0x1ef, v60
	v_lshrrev_b16 v109, 3, v48
	v_mul_lo_u16 v48, v108, 11
	v_mul_u32_u24_sdwa v50, v49, v50 dst_sel:DWORD dst_unused:UNUSED_PAD src0_sel:WORD_0 src1_sel:DWORD
	v_mul_lo_u16 v51, v109, 11
	v_sub_nc_u16 v111, v62, v48
	v_lshrrev_b32_e32 v48, 19, v50
	v_sub_nc_u16 v112, v60, v51
	v_lshlrev_b32_sdwa v59, v58, v111 dst_sel:DWORD dst_unused:UNUSED_PAD src0_sel:DWORD src1_sel:WORD_0
	v_mul_lo_u16 v73, v48, 11
	s_clause 0x3
	global_load_dwordx4 v[50:53], v54, s[8:9]
	global_load_dwordx4 v[54:57], v54, s[8:9] offset:16
	global_load_dwordx4 v[65:68], v59, s[8:9] offset:16
	global_load_dwordx4 v[69:72], v59, s[8:9]
	v_sub_nc_u16 v49, v49, v73
	v_lshlrev_b32_sdwa v77, v58, v112 dst_sel:DWORD dst_unused:UNUSED_PAD src0_sel:DWORD src1_sel:BYTE_0
	s_clause 0x1
	global_load_dwordx4 v[73:76], v77, s[8:9]
	global_load_dwordx4 v[84:87], v77, s[8:9] offset:16
	v_lshlrev_b32_sdwa v58, v58, v49 dst_sel:DWORD dst_unused:UNUSED_PAD src0_sel:DWORD src1_sel:WORD_0
	s_clause 0x1
	global_load_dwordx4 v[88:91], v58, s[8:9]
	global_load_dwordx4 v[92:95], v58, s[8:9] offset:16
	s_waitcnt vmcnt(0) lgkmcnt(0)
	s_barrier
	buffer_gl0_inv
	v_mul_f64 v[58:59], v[42:43], v[52:53]
	v_mul_f64 v[52:53], v[40:41], v[52:53]
	;; [unrolled: 1-line block ×16, first 2 shown]
	v_fma_f64 v[40:41], v[40:41], v[50:51], v[58:59]
	v_fma_f64 v[42:43], v[42:43], v[50:51], -v[52:53]
	v_fma_f64 v[36:37], v[36:37], v[54:55], v[77:78]
	v_fma_f64 v[38:39], v[38:39], v[54:55], -v[56:57]
	v_fma_f64 v[28:29], v[28:29], v[69:70], v[96:97]
	v_fma_f64 v[32:33], v[32:33], v[65:66], v[98:99]
	v_fma_f64 v[30:31], v[30:31], v[69:70], -v[71:72]
	v_fma_f64 v[34:35], v[34:35], v[65:66], -v[67:68]
	v_mov_b32_e32 v98, 0x210
	v_mul_u32_u24_e32 v99, 0x210, v108
	v_fma_f64 v[50:51], v[24:25], v[73:74], v[100:101]
	v_fma_f64 v[52:53], v[20:21], v[84:85], v[102:103]
	v_fma_f64 v[25:26], v[26:27], v[73:74], -v[75:76]
	v_fma_f64 v[54:55], v[22:23], v[84:85], -v[86:87]
	v_mov_b32_e32 v24, 4
	v_fma_f64 v[20:21], v[16:17], v[88:89], v[104:105]
	v_fma_f64 v[16:17], v[44:45], v[92:93], v[106:107]
	v_fma_f64 v[22:23], v[18:19], v[88:89], -v[90:91]
	v_fma_f64 v[18:19], v[46:47], v[92:93], -v[94:95]
	v_add_f64 v[71:72], v[12:13], v[40:41]
	v_add_f64 v[44:45], v[40:41], v[36:37]
	v_add_f64 v[46:47], v[42:43], v[38:39]
	v_add_f64 v[75:76], v[42:43], -v[38:39]
	v_add_f64 v[56:57], v[28:29], v[32:33]
	v_add_f64 v[42:43], v[14:15], v[42:43]
	v_add_f64 v[67:68], v[30:31], v[34:35]
	v_add_f64 v[40:41], v[40:41], -v[36:37]
	;; [unrolled: 4-line block ×3, first 2 shown]
	v_add_f64 v[65:66], v[25:26], v[54:55]
	v_add_f64 v[88:89], v[25:26], -v[54:55]
	v_add_f64 v[90:91], v[6:7], v[25:26]
	v_add_f64 v[92:93], v[28:29], -v[32:33]
	;; [unrolled: 2-line block ×4, first 2 shown]
	v_fma_f64 v[44:45], v[44:45], -0.5, v[12:13]
	v_fma_f64 v[46:47], v[46:47], -0.5, v[14:15]
	v_add_f64 v[12:13], v[71:72], v[36:37]
	v_fma_f64 v[0:1], v[56:57], -0.5, v[0:1]
	v_add_f64 v[56:57], v[4:5], v[50:51]
	;; [unrolled: 2-line block ×3, first 2 shown]
	v_add_f64 v[25:26], v[77:78], v[32:33]
	v_add_f64 v[27:28], v[84:85], v[34:35]
	v_fma_f64 v[4:5], v[58:59], -0.5, v[4:5]
	v_add_f64 v[58:59], v[50:51], -v[52:53]
	v_fma_f64 v[6:7], v[65:66], -0.5, v[6:7]
	v_fma_f64 v[69:70], v[69:70], -0.5, v[8:9]
	;; [unrolled: 1-line block ×3, first 2 shown]
	v_fma_f64 v[29:30], v[75:76], s[4:5], v[44:45]
	v_fma_f64 v[33:34], v[75:76], s[6:7], v[44:45]
	v_fma_f64 v[31:32], v[40:41], s[6:7], v[46:47]
	v_fma_f64 v[35:36], v[40:41], s[4:5], v[46:47]
	v_fma_f64 v[37:38], v[86:87], s[4:5], v[0:1]
	v_add_f64 v[41:42], v[56:57], v[52:53]
	v_add_f64 v[43:44], v[90:91], v[54:55]
	v_fma_f64 v[65:66], v[86:87], s[6:7], v[0:1]
	v_fma_f64 v[39:40], v[92:93], s[6:7], v[2:3]
	;; [unrolled: 1-line block ×7, first 2 shown]
	v_mul_u32_u24_sdwa v46, v109, v98 dst_sel:DWORD dst_unused:UNUSED_PAD src0_sel:WORD_0 src1_sel:DWORD
	v_fma_f64 v[0:1], v[94:95], s[4:5], v[69:70]
	v_fma_f64 v[4:5], v[94:95], s[6:7], v[69:70]
	;; [unrolled: 1-line block ×4, first 2 shown]
	v_lshlrev_b32_sdwa v47, v24, v112 dst_sel:DWORD dst_unused:UNUSED_PAD src0_sel:DWORD src1_sel:BYTE_0
	v_lshlrev_b32_sdwa v45, v24, v110 dst_sel:DWORD dst_unused:UNUSED_PAD src0_sel:DWORD src1_sel:WORD_0
	v_lshlrev_b32_sdwa v58, v24, v111 dst_sel:DWORD dst_unused:UNUSED_PAD src0_sel:DWORD src1_sel:WORD_0
	v_add3_u32 v46, 0, v46, v47
	v_add3_u32 v45, 0, v79, v45
	;; [unrolled: 1-line block ×3, first 2 shown]
	ds_write_b128 v46, v[41:44]
	ds_write_b128 v46, v[50:53] offset:176
	ds_write_b128 v46, v[54:57] offset:352
	ds_write_b128 v45, v[12:15]
	ds_write_b128 v45, v[29:32] offset:176
	ds_write_b128 v45, v[33:36] offset:352
	;; [unrolled: 3-line block ×3, first 2 shown]
	s_and_saveexec_b32 s1, s0
	s_cbranch_execz .LBB0_15
; %bb.14:
	v_add_f64 v[10:11], v[10:11], v[22:23]
	v_add_f64 v[8:9], v[8:9], v[20:21]
	v_mul_lo_u16 v12, v48, 33
	v_lshlrev_b32_sdwa v13, v24, v49 dst_sel:DWORD dst_unused:UNUSED_PAD src0_sel:DWORD src1_sel:WORD_0
	v_lshlrev_b32_sdwa v12, v24, v12 dst_sel:DWORD dst_unused:UNUSED_PAD src0_sel:DWORD src1_sel:WORD_0
	v_add3_u32 v12, 0, v13, v12
	v_add_f64 v[10:11], v[10:11], v[18:19]
	v_add_f64 v[8:9], v[8:9], v[16:17]
	ds_write_b128 v12, v[0:3] offset:176
	ds_write_b128 v12, v[8:11]
	ds_write_b128 v12, v[4:7] offset:352
.LBB0_15:
	s_or_b32 exec_lo, exec_lo, s1
	s_waitcnt lgkmcnt(0)
	s_barrier
	buffer_gl0_inv
	ds_read_b128 v[24:27], v61
	ds_read_b128 v[20:23], v61 offset:2640
	ds_read_b128 v[48:51], v61 offset:5808
	;; [unrolled: 1-line block ×9, first 2 shown]
	v_cmp_gt_u32_e64 s0, 33, v60
                                        ; implicit-def: $vgpr18_vgpr19
                                        ; implicit-def: $vgpr14_vgpr15
                                        ; implicit-def: $vgpr10_vgpr11
	s_and_saveexec_b32 s1, s0
	s_cbranch_execz .LBB0_17
; %bb.16:
	ds_read_b128 v[0:3], v61 offset:5280
	ds_read_b128 v[4:7], v61 offset:11088
	;; [unrolled: 1-line block ×5, first 2 shown]
.LBB0_17:
	s_or_b32 exec_lo, exec_lo, s1
	v_mul_lo_u16 v64, 0xf9, v64
	v_mov_b32_e32 v77, 6
	s_mov_b32 s10, 0x134454ff
	s_mov_b32 s11, 0xbfee6f0e
	;; [unrolled: 1-line block ×3, first 2 shown]
	v_lshrrev_b16 v79, 13, v64
	v_mov_b32_e32 v64, 0xf83f
	s_mov_b32 s14, s10
	s_mov_b32 s6, 0x4755a5e
	;; [unrolled: 1-line block ×3, first 2 shown]
	v_mul_lo_u16 v65, v79, 33
	v_mul_u32_u24_sdwa v66, v63, v64 dst_sel:DWORD dst_unused:UNUSED_PAD src0_sel:WORD_0 src1_sel:DWORD
	s_mov_b32 s13, 0x3fe2cf23
	s_mov_b32 s12, s6
	;; [unrolled: 1-line block ×3, first 2 shown]
	v_sub_nc_u16 v130, v60, v65
	v_lshrrev_b32_e32 v131, 21, v66
	s_mov_b32 s5, 0x3fd3c6ef
	v_lshlrev_b32_sdwa v78, v77, v130 dst_sel:DWORD dst_unused:UNUSED_PAD src0_sel:DWORD src1_sel:BYTE_0
	v_mul_lo_u16 v73, v131, 33
	s_clause 0x1
	global_load_dwordx4 v[65:68], v78, s[8:9] offset:352
	global_load_dwordx4 v[69:72], v78, s[8:9] offset:368
	v_sub_nc_u16 v63, v63, v73
	s_clause 0x1
	global_load_dwordx4 v[73:76], v78, s[8:9] offset:384
	global_load_dwordx4 v[84:87], v78, s[8:9] offset:400
	v_lshlrev_b32_sdwa v77, v77, v63 dst_sel:DWORD dst_unused:UNUSED_PAD src0_sel:DWORD src1_sel:WORD_0
	s_clause 0x3
	global_load_dwordx4 v[88:91], v77, s[8:9] offset:352
	global_load_dwordx4 v[92:95], v77, s[8:9] offset:368
	;; [unrolled: 1-line block ×4, first 2 shown]
	s_waitcnt vmcnt(0) lgkmcnt(0)
	s_barrier
	buffer_gl0_inv
	v_mul_f64 v[77:78], v[50:51], v[67:68]
	v_mul_f64 v[104:105], v[54:55], v[71:72]
	;; [unrolled: 1-line block ×16, first 2 shown]
	v_fma_f64 v[48:49], v[48:49], v[65:66], v[77:78]
	v_fma_f64 v[52:53], v[52:53], v[69:70], v[104:105]
	v_fma_f64 v[54:55], v[54:55], v[69:70], -v[71:72]
	v_fma_f64 v[56:57], v[56:57], v[73:74], v[106:107]
	v_fma_f64 v[58:59], v[58:59], v[73:74], -v[75:76]
	v_fma_f64 v[50:51], v[50:51], v[65:66], -v[67:68]
	;; [unrolled: 1-line block ×3, first 2 shown]
	v_fma_f64 v[44:45], v[44:45], v[84:85], v[86:87]
	v_fma_f64 v[28:29], v[28:29], v[88:89], v[110:111]
	;; [unrolled: 1-line block ×3, first 2 shown]
	v_fma_f64 v[34:35], v[34:35], v[92:93], -v[94:95]
	v_fma_f64 v[36:37], v[36:37], v[96:97], v[114:115]
	v_fma_f64 v[38:39], v[38:39], v[96:97], -v[98:99]
	v_fma_f64 v[30:31], v[30:31], v[88:89], -v[90:91]
	v_fma_f64 v[40:41], v[40:41], v[100:101], v[116:117]
	v_fma_f64 v[42:43], v[42:43], v[100:101], -v[102:103]
	v_add_f64 v[65:66], v[24:25], v[48:49]
	v_add_f64 v[73:74], v[48:49], -v[52:53]
	v_add_f64 v[84:85], v[52:53], -v[48:49]
	v_add_f64 v[67:68], v[52:53], v[56:57]
	v_add_f64 v[90:91], v[54:55], v[58:59]
	;; [unrolled: 1-line block ×5, first 2 shown]
	v_add_f64 v[75:76], v[44:45], -v[56:57]
	v_add_f64 v[69:70], v[50:51], -v[46:47]
	;; [unrolled: 1-line block ×4, first 2 shown]
	v_add_f64 v[102:103], v[32:33], v[36:37]
	v_add_f64 v[110:111], v[34:35], v[38:39]
	v_add_f64 v[94:95], v[50:51], -v[54:55]
	v_add_f64 v[106:107], v[28:29], v[40:41]
	v_add_f64 v[112:113], v[30:31], v[42:43]
	v_add_f64 v[96:97], v[46:47], -v[58:59]
	v_add_f64 v[50:51], v[54:55], -v[50:51]
	;; [unrolled: 1-line block ×3, first 2 shown]
	v_add_f64 v[104:105], v[20:21], v[28:29]
	v_add_f64 v[71:72], v[54:55], -v[58:59]
	v_add_f64 v[92:93], v[52:53], -v[56:57]
	v_add_f64 v[124:125], v[22:23], v[30:31]
	v_add_f64 v[108:109], v[30:31], -v[42:43]
	v_fma_f64 v[67:68], v[67:68], -0.5, v[24:25]
	v_fma_f64 v[90:91], v[90:91], -0.5, v[26:27]
	v_add_f64 v[116:117], v[28:29], -v[32:33]
	v_fma_f64 v[26:27], v[98:99], -0.5, v[26:27]
	v_fma_f64 v[24:25], v[77:78], -0.5, v[24:25]
	v_add_f64 v[120:121], v[32:33], -v[28:29]
	v_add_f64 v[28:29], v[28:29], -v[40:41]
	v_add_f64 v[52:53], v[65:66], v[52:53]
	v_add_f64 v[65:66], v[73:74], v[75:76]
	v_fma_f64 v[102:103], v[102:103], -0.5, v[20:21]
	v_fma_f64 v[73:74], v[110:111], -0.5, v[22:23]
	v_add_f64 v[114:115], v[34:35], -v[38:39]
	v_add_f64 v[118:119], v[40:41], -v[36:37]
	;; [unrolled: 1-line block ×3, first 2 shown]
	v_fma_f64 v[20:21], v[106:107], -0.5, v[20:21]
	v_fma_f64 v[22:23], v[112:113], -0.5, v[22:23]
	v_add_f64 v[128:129], v[30:31], -v[34:35]
	v_add_f64 v[30:31], v[34:35], -v[30:31]
	;; [unrolled: 1-line block ×3, first 2 shown]
	v_add_f64 v[54:55], v[88:89], v[54:55]
	v_add_f64 v[75:76], v[84:85], v[86:87]
	;; [unrolled: 1-line block ×5, first 2 shown]
	v_fma_f64 v[94:95], v[69:70], s[10:11], v[67:68]
	v_fma_f64 v[100:101], v[48:49], s[14:15], v[90:91]
	v_add_f64 v[34:35], v[124:125], v[34:35]
	v_fma_f64 v[67:68], v[69:70], s[14:15], v[67:68]
	v_fma_f64 v[96:97], v[71:72], s[14:15], v[24:25]
	v_fma_f64 v[24:25], v[71:72], s[10:11], v[24:25]
	v_fma_f64 v[104:105], v[92:93], s[10:11], v[26:27]
	v_fma_f64 v[26:27], v[92:93], s[14:15], v[26:27]
	v_fma_f64 v[90:91], v[48:49], s[10:11], v[90:91]
	v_add_f64 v[77:78], v[42:43], -v[38:39]
	v_fma_f64 v[106:107], v[108:109], s[10:11], v[102:103]
	v_fma_f64 v[112:113], v[28:29], s[14:15], v[73:74]
	v_add_f64 v[122:123], v[36:37], -v[40:41]
	v_add_f64 v[86:87], v[116:117], v[118:119]
	v_fma_f64 v[110:111], v[114:115], s[14:15], v[20:21]
	v_fma_f64 v[116:117], v[126:127], s[10:11], v[22:23]
	;; [unrolled: 1-line block ×6, first 2 shown]
	v_add_f64 v[98:99], v[30:31], v[98:99]
	v_add_f64 v[30:31], v[52:53], v[56:57]
	;; [unrolled: 1-line block ×4, first 2 shown]
	v_fma_f64 v[36:37], v[71:72], s[6:7], v[94:95]
	v_fma_f64 v[58:59], v[92:93], s[12:13], v[100:101]
	v_add_f64 v[34:35], v[34:35], v[38:39]
	v_fma_f64 v[38:39], v[71:72], s[12:13], v[67:68]
	v_fma_f64 v[54:55], v[69:70], s[6:7], v[96:97]
	;; [unrolled: 1-line block ×6, first 2 shown]
	v_add_f64 v[77:78], v[128:129], v[77:78]
	v_fma_f64 v[71:72], v[114:115], s[6:7], v[106:107]
	v_fma_f64 v[96:97], v[126:127], s[12:13], v[112:113]
	v_add_f64 v[88:89], v[120:121], v[122:123]
	v_fma_f64 v[92:93], v[108:109], s[6:7], v[110:111]
	v_fma_f64 v[100:101], v[28:29], s[12:13], v[116:117]
	;; [unrolled: 1-line block ×6, first 2 shown]
	v_add_f64 v[20:21], v[30:31], v[44:45]
	v_add_f64 v[22:23], v[52:53], v[46:47]
	;; [unrolled: 1-line block ×3, first 2 shown]
	v_fma_f64 v[28:29], v[65:66], s[4:5], v[36:37]
	v_fma_f64 v[30:31], v[84:85], s[4:5], v[58:59]
	v_add_f64 v[26:27], v[34:35], v[42:43]
	v_fma_f64 v[32:33], v[65:66], s[4:5], v[38:39]
	v_fma_f64 v[36:37], v[75:76], s[4:5], v[54:55]
	;; [unrolled: 1-line block ×6, first 2 shown]
	v_mov_b32_e32 v104, 0xa50
	v_fma_f64 v[44:45], v[86:87], s[4:5], v[71:72]
	v_fma_f64 v[46:47], v[77:78], s[4:5], v[96:97]
	v_mov_b32_e32 v105, 4
	v_fma_f64 v[52:53], v[88:89], s[4:5], v[92:93]
	v_fma_f64 v[54:55], v[98:99], s[4:5], v[100:101]
	;; [unrolled: 1-line block ×6, first 2 shown]
	v_mul_u32_u24_sdwa v65, v79, v104 dst_sel:DWORD dst_unused:UNUSED_PAD src0_sel:WORD_0 src1_sel:DWORD
	v_lshlrev_b32_sdwa v66, v105, v130 dst_sel:DWORD dst_unused:UNUSED_PAD src0_sel:DWORD src1_sel:BYTE_0
	v_mul_u32_u24_e32 v67, 0xa50, v131
	v_lshlrev_b32_sdwa v63, v105, v63 dst_sel:DWORD dst_unused:UNUSED_PAD src0_sel:DWORD src1_sel:WORD_0
	v_add3_u32 v65, 0, v65, v66
	v_add3_u32 v63, 0, v67, v63
	ds_write_b128 v65, v[20:23]
	ds_write_b128 v65, v[28:31] offset:528
	ds_write_b128 v65, v[36:39] offset:1056
	ds_write_b128 v65, v[40:43] offset:1584
	ds_write_b128 v65, v[32:35] offset:2112
	ds_write_b128 v63, v[24:27]
	ds_write_b128 v63, v[44:47] offset:528
	ds_write_b128 v63, v[52:55] offset:1056
	ds_write_b128 v63, v[56:59] offset:1584
	ds_write_b128 v63, v[48:51] offset:2112
	s_and_saveexec_b32 s1, s0
	s_cbranch_execz .LBB0_19
; %bb.18:
	v_mul_u32_u24_sdwa v20, v62, v64 dst_sel:DWORD dst_unused:UNUSED_PAD src0_sel:WORD_0 src1_sel:DWORD
	v_lshrrev_b32_e32 v20, 21, v20
	v_mul_lo_u16 v20, v20, 33
	v_sub_nc_u16 v20, v62, v20
	v_and_b32_e32 v52, 0xffff, v20
	v_lshlrev_b32_e32 v32, 6, v52
	s_clause 0x3
	global_load_dwordx4 v[20:23], v32, s[8:9] offset:368
	global_load_dwordx4 v[24:27], v32, s[8:9] offset:352
	;; [unrolled: 1-line block ×4, first 2 shown]
	s_waitcnt vmcnt(3)
	v_mul_f64 v[36:37], v[8:9], v[22:23]
	s_waitcnt vmcnt(2)
	v_mul_f64 v[38:39], v[4:5], v[26:27]
	;; [unrolled: 2-line block ×4, first 2 shown]
	v_mul_f64 v[22:23], v[10:11], v[22:23]
	v_mul_f64 v[34:35], v[14:15], v[34:35]
	v_mul_f64 v[26:27], v[6:7], v[26:27]
	v_mul_f64 v[30:31], v[18:19], v[30:31]
	v_fma_f64 v[10:11], v[10:11], v[20:21], -v[36:37]
	v_fma_f64 v[6:7], v[6:7], v[24:25], -v[38:39]
	;; [unrolled: 1-line block ×4, first 2 shown]
	v_fma_f64 v[8:9], v[8:9], v[20:21], v[22:23]
	v_fma_f64 v[12:13], v[12:13], v[32:33], v[34:35]
	;; [unrolled: 1-line block ×4, first 2 shown]
	v_add_f64 v[32:33], v[2:3], v[6:7]
	v_add_f64 v[20:21], v[6:7], v[18:19]
	;; [unrolled: 1-line block ×3, first 2 shown]
	v_add_f64 v[36:37], v[6:7], -v[18:19]
	v_add_f64 v[24:25], v[8:9], v[12:13]
	v_add_f64 v[34:35], v[0:1], v[4:5]
	;; [unrolled: 1-line block ×3, first 2 shown]
	v_add_f64 v[28:29], v[8:9], -v[12:13]
	v_add_f64 v[30:31], v[4:5], -v[16:17]
	;; [unrolled: 1-line block ×8, first 2 shown]
	v_fma_f64 v[20:21], v[20:21], -0.5, v[2:3]
	v_fma_f64 v[2:3], v[22:23], -0.5, v[2:3]
	v_add_f64 v[22:23], v[10:11], -v[14:15]
	v_fma_f64 v[24:25], v[24:25], -0.5, v[0:1]
	v_add_f64 v[8:9], v[34:35], v[8:9]
	v_fma_f64 v[0:1], v[26:27], -0.5, v[0:1]
	v_add_f64 v[26:27], v[10:11], -v[6:7]
	v_add_f64 v[6:7], v[6:7], -v[10:11]
	v_add_f64 v[10:11], v[32:33], v[10:11]
	v_fma_f64 v[32:33], v[28:29], s[14:15], v[20:21]
	v_fma_f64 v[20:21], v[28:29], s[10:11], v[20:21]
	;; [unrolled: 1-line block ×8, first 2 shown]
	v_add_f64 v[26:27], v[26:27], v[38:39]
	v_add_f64 v[38:39], v[6:7], v[40:41]
	;; [unrolled: 1-line block ×6, first 2 shown]
	v_fma_f64 v[8:9], v[30:31], s[6:7], v[32:33]
	v_fma_f64 v[10:11], v[30:31], s[12:13], v[20:21]
	;; [unrolled: 1-line block ×8, first 2 shown]
	v_add_f64 v[2:3], v[4:5], v[18:19]
	v_add_f64 v[0:1], v[6:7], v[16:17]
	v_fma_f64 v[6:7], v[26:27], s[4:5], v[8:9]
	v_fma_f64 v[10:11], v[26:27], s[4:5], v[10:11]
	;; [unrolled: 1-line block ×8, first 2 shown]
	v_lshl_add_u32 v20, v52, 4, 0
	ds_write_b128 v20, v[0:3] offset:26400
	ds_write_b128 v20, v[16:19] offset:26928
	;; [unrolled: 1-line block ×5, first 2 shown]
.LBB0_19:
	s_or_b32 exec_lo, exec_lo, s1
	s_waitcnt lgkmcnt(0)
	s_barrier
	buffer_gl0_inv
	s_and_saveexec_b32 s0, vcc_lo
	s_cbranch_execz .LBB0_21
; %bb.20:
	v_mul_u32_u24_e32 v0, 10, v60
	v_lshl_add_u32 v86, v60, 4, 0
	v_lshlrev_b64 v[84:85], 4, v[82:83]
	s_mov_b32 s12, 0x43842ef
	s_mov_b32 s16, 0xbb3a28a1
	v_lshlrev_b32_e32 v0, 4, v0
	s_mov_b32 s18, 0xf8bb580b
	s_mov_b32 s20, 0xfd768dbf
	;; [unrolled: 1-line block ×4, first 2 shown]
	v_add_co_u32 v4, s0, s8, v0
	v_add_co_ci_u32_e64 v5, null, s9, 0, s0
	s_mov_b32 s19, 0x3fe14ced
	v_add_co_u32 v0, vcc_lo, 0x9e0, v4
	v_add_co_ci_u32_e32 v1, vcc_lo, 0, v5, vcc_lo
	v_add_co_u32 v2, vcc_lo, 0x800, v4
	v_add_co_ci_u32_e32 v3, vcc_lo, 0, v5, vcc_lo
	;; [unrolled: 2-line block ×3, first 2 shown]
	v_add_co_u32 v14, vcc_lo, 0xa20, v4
	s_clause 0x3
	global_load_dwordx4 v[24:27], v[2:3], off offset:480
	global_load_dwordx4 v[32:35], v[0:1], off offset:32
	global_load_dwordx4 v[28:31], v[0:1], off offset:16
	global_load_dwordx4 v[40:43], v[12:13], off offset:48
	v_add_co_ci_u32_e32 v15, vcc_lo, 0, v5, vcc_lo
	s_clause 0x5
	global_load_dwordx4 v[8:11], v[12:13], off offset:32
	global_load_dwordx4 v[4:7], v[0:1], off offset:48
	;; [unrolled: 1-line block ×6, first 2 shown]
	ds_read_b128 v[52:55], v61 offset:13200
	ds_read_b128 v[56:59], v61 offset:15840
	;; [unrolled: 1-line block ×4, first 2 shown]
	ds_read_b128 v[0:3], v61
	ds_read_b128 v[68:71], v61 offset:2640
	ds_read_b128 v[44:47], v61 offset:23760
	;; [unrolled: 1-line block ×5, first 2 shown]
	v_add_co_u32 v87, vcc_lo, s2, v80
	v_add_co_ci_u32_e32 v88, vcc_lo, s3, v81, vcc_lo
	ds_read_b128 v[80:83], v86 offset:7920
	s_mov_b32 s21, 0xbfd207e7
	s_mov_b32 s23, 0xbfe14ced
	s_mov_b32 s22, s18
	s_mov_b32 s11, 0x3fed1bb4
	s_mov_b32 s10, 0x8eee2c13
	s_mov_b32 s26, s20
	s_mov_b32 s0, 0x640f44db
	s_mov_b32 s6, 0x7f775887
	s_mov_b32 s8, 0x8764f0ba
	s_mov_b32 s14, 0x9bcd5057
	s_mov_b32 s1, 0xbfc2375f
	s_mov_b32 s7, 0xbfe4f49e
	s_mov_b32 s9, 0x3feaeb8c
	s_mov_b32 s15, 0xbfeeb42a
	s_mov_b32 s25, 0x3fefac9e
	s_mov_b32 s24, s12
	s_mov_b32 s4, 0xd9c712b6
	s_mov_b32 s5, 0x3fda9628
	v_add_co_u32 v84, vcc_lo, v87, v84
	v_add_co_ci_u32_e32 v85, vcc_lo, v88, v85, vcc_lo
	v_add_co_u32 v86, vcc_lo, 0x800, v84
	v_add_co_ci_u32_e32 v87, vcc_lo, 0, v85, vcc_lo
	;; [unrolled: 2-line block ×5, first 2 shown]
	s_waitcnt vmcnt(9) lgkmcnt(10)
	v_mul_f64 v[92:93], v[26:27], v[54:55]
	s_waitcnt vmcnt(8) lgkmcnt(8)
	v_mul_f64 v[98:99], v[34:35], v[66:67]
	v_mul_f64 v[34:35], v[64:65], v[34:35]
	s_waitcnt vmcnt(6) lgkmcnt(2)
	v_mul_f64 v[96:97], v[42:43], v[78:79]
	v_mul_f64 v[42:43], v[76:77], v[42:43]
	s_waitcnt vmcnt(3)
	v_mul_f64 v[104:105], v[38:39], v[70:71]
	s_waitcnt vmcnt(2)
	v_mul_f64 v[106:107], v[50:51], v[74:75]
	v_mul_f64 v[38:39], v[68:69], v[38:39]
	v_mul_f64 v[50:51], v[72:73], v[50:51]
	v_mul_f64 v[94:95], v[30:31], v[58:59]
	s_waitcnt lgkmcnt(0)
	v_mul_f64 v[100:101], v[10:11], v[82:83]
	v_mul_f64 v[102:103], v[6:7], v[22:23]
	;; [unrolled: 1-line block ×6, first 2 shown]
	s_waitcnt vmcnt(1)
	v_mul_f64 v[110:111], v[14:15], v[62:63]
	s_waitcnt vmcnt(0)
	v_mul_f64 v[112:113], v[18:19], v[46:47]
	v_mul_f64 v[14:15], v[60:61], v[14:15]
	;; [unrolled: 1-line block ×3, first 2 shown]
	v_fma_f64 v[52:53], v[24:25], v[52:53], v[92:93]
	v_fma_f64 v[64:65], v[32:33], v[64:65], v[98:99]
	v_fma_f64 v[32:33], v[32:33], v[66:67], -v[34:35]
	v_fma_f64 v[76:77], v[40:41], v[76:77], v[96:97]
	v_fma_f64 v[40:41], v[40:41], v[78:79], -v[42:43]
	v_fma_f64 v[42:43], v[36:37], v[68:69], v[104:105]
	v_fma_f64 v[66:67], v[48:49], v[72:73], v[106:107]
	v_fma_f64 v[36:37], v[36:37], v[70:71], -v[38:39]
	v_fma_f64 v[48:49], v[48:49], v[74:75], -v[50:51]
	v_fma_f64 v[56:57], v[28:29], v[56:57], v[94:95]
	v_fma_f64 v[34:35], v[8:9], v[80:81], v[100:101]
	;; [unrolled: 1-line block ×3, first 2 shown]
	v_fma_f64 v[24:25], v[24:25], v[54:55], -v[26:27]
	v_fma_f64 v[26:27], v[28:29], v[58:59], -v[30:31]
	;; [unrolled: 1-line block ×4, first 2 shown]
	v_fma_f64 v[6:7], v[12:13], v[60:61], v[110:111]
	v_fma_f64 v[10:11], v[16:17], v[44:45], v[112:113]
	v_fma_f64 v[12:13], v[12:13], v[62:63], -v[14:15]
	v_fma_f64 v[14:15], v[16:17], v[46:47], -v[18:19]
	v_add_co_u32 v50, vcc_lo, 0x3000, v84
	v_add_co_ci_u32_e32 v51, vcc_lo, 0, v85, vcc_lo
	v_add_co_u32 v54, vcc_lo, 0x3800, v84
	v_add_f64 v[18:19], v[76:77], -v[64:65]
	v_add_f64 v[30:31], v[40:41], -v[32:33]
	;; [unrolled: 1-line block ×3, first 2 shown]
	v_add_f64 v[72:73], v[42:43], v[66:67]
	v_add_f64 v[38:39], v[36:37], -v[48:49]
	v_add_f64 v[70:71], v[36:37], v[48:49]
	v_add_f64 v[36:37], v[2:3], v[36:37]
	;; [unrolled: 1-line block ×3, first 2 shown]
	v_add_f64 v[16:17], v[52:53], -v[56:57]
	v_add_f64 v[22:23], v[34:35], -v[20:21]
	v_add_f64 v[46:47], v[24:25], -v[26:27]
	v_add_f64 v[62:63], v[8:9], -v[4:5]
	v_add_f64 v[68:69], v[8:9], v[4:5]
	v_add_f64 v[80:81], v[6:7], -v[10:11]
	v_add_f64 v[94:95], v[6:7], v[10:11]
	v_add_f64 v[82:83], v[12:13], v[14:15]
	v_add_f64 v[92:93], v[12:13], -v[14:15]
	v_add_f64 v[96:97], v[34:35], v[20:21]
	v_add_f64 v[58:59], v[24:25], v[26:27]
	;; [unrolled: 1-line block ×5, first 2 shown]
	v_mul_f64 v[100:101], v[18:19], s[10:11]
	v_mul_f64 v[106:107], v[30:31], s[10:11]
	;; [unrolled: 1-line block ×6, first 2 shown]
	v_add_f64 v[12:13], v[12:13], v[36:37]
	v_add_f64 v[6:7], v[6:7], v[42:43]
	v_mul_f64 v[134:135], v[38:39], s[12:13]
	v_mul_f64 v[142:143], v[28:29], s[22:23]
	;; [unrolled: 1-line block ×8, first 2 shown]
	s_mov_b32 s11, 0xbfed1bb4
	v_mul_f64 v[168:169], v[92:93], s[16:17]
	v_mul_f64 v[170:171], v[62:63], s[16:17]
	;; [unrolled: 1-line block ×11, first 2 shown]
	v_add_f64 v[8:9], v[8:9], v[12:13]
	v_add_f64 v[6:7], v[34:35], v[6:7]
	v_mul_f64 v[124:125], v[16:17], s[16:17]
	v_mul_f64 v[126:127], v[18:19], s[22:23]
	;; [unrolled: 1-line block ×20, first 2 shown]
	v_add_f64 v[8:9], v[40:41], v[8:9]
	v_add_f64 v[6:7], v[76:77], v[6:7]
	v_mul_f64 v[42:43], v[92:93], s[18:19]
	v_mul_f64 v[164:165], v[92:93], s[24:25]
	;; [unrolled: 1-line block ×5, first 2 shown]
	v_fma_f64 v[182:183], v[70:71], s[14:15], v[104:105]
	v_fma_f64 v[184:185], v[72:73], s[14:15], -v[110:111]
	v_fma_f64 v[104:105], v[70:71], s[14:15], -v[104:105]
	v_fma_f64 v[110:111], v[72:73], s[14:15], v[110:111]
	v_fma_f64 v[192:193], v[70:71], s[6:7], v[118:119]
	v_fma_f64 v[194:195], v[72:73], s[6:7], -v[122:123]
	v_fma_f64 v[118:119], v[70:71], s[6:7], -v[118:119]
	v_fma_f64 v[122:123], v[72:73], s[6:7], v[122:123]
	v_fma_f64 v[204:205], v[72:73], s[0:1], -v[134:135]
	v_fma_f64 v[206:207], v[70:71], s[8:9], v[142:143]
	v_fma_f64 v[208:209], v[72:73], s[8:9], -v[144:145]
	v_fma_f64 v[142:143], v[70:71], s[8:9], -v[142:143]
	v_fma_f64 v[144:145], v[72:73], s[8:9], v[144:145]
	v_fma_f64 v[202:203], v[70:71], s[0:1], v[130:131]
	v_fma_f64 v[130:131], v[70:71], s[0:1], -v[130:131]
	v_fma_f64 v[134:135], v[72:73], s[0:1], v[134:135]
	v_fma_f64 v[40:41], v[94:95], s[6:7], -v[168:169]
	;; [unrolled: 2-line block ×7, first 2 shown]
	v_fma_f64 v[62:63], v[96:97], s[0:1], v[62:63]
	v_fma_f64 v[96:97], v[70:71], s[4:5], v[28:29]
	v_fma_f64 v[28:29], v[70:71], s[4:5], -v[28:29]
	v_fma_f64 v[70:71], v[72:73], s[4:5], -v[38:39]
	v_fma_f64 v[38:39], v[72:73], s[4:5], v[38:39]
	v_add_f64 v[8:9], v[24:25], v[8:9]
	v_add_f64 v[6:7], v[52:53], v[6:7]
	v_fma_f64 v[176:177], v[58:59], s[0:1], v[98:99]
	v_fma_f64 v[178:179], v[60:61], s[4:5], v[100:101]
	v_fma_f64 v[180:181], v[68:69], s[6:7], v[102:103]
	v_fma_f64 v[98:99], v[58:59], s[0:1], -v[98:99]
	v_fma_f64 v[100:101], v[60:61], s[4:5], -v[100:101]
	v_fma_f64 v[102:103], v[68:69], s[6:7], -v[102:103]
	v_fma_f64 v[186:187], v[58:59], s[4:5], v[112:113]
	v_fma_f64 v[188:189], v[60:61], s[14:15], v[114:115]
	v_fma_f64 v[190:191], v[68:69], s[8:9], v[116:117]
	v_fma_f64 v[112:113], v[58:59], s[4:5], -v[112:113]
	v_fma_f64 v[114:115], v[60:61], s[14:15], -v[114:115]
	v_fma_f64 v[116:117], v[68:69], s[8:9], -v[116:117]
	;; [unrolled: 6-line block ×4, first 2 shown]
	v_fma_f64 v[216:217], v[58:59], s[14:15], v[16:17]
	v_fma_f64 v[58:59], v[58:59], s[14:15], -v[16:17]
	v_fma_f64 v[16:17], v[60:61], s[6:7], v[18:19]
	v_fma_f64 v[18:19], v[60:61], s[6:7], -v[18:19]
	;; [unrolled: 2-line block ×3, first 2 shown]
	v_fma_f64 v[68:69], v[74:75], s[0:1], -v[146:147]
	v_fma_f64 v[146:147], v[74:75], s[0:1], v[146:147]
	v_fma_f64 v[218:219], v[74:75], s[4:5], -v[120:121]
	v_fma_f64 v[120:121], v[74:75], s[4:5], v[120:121]
	;; [unrolled: 2-line block ×10, first 2 shown]
	v_fma_f64 v[78:79], v[82:83], s[8:9], v[36:37]
	v_fma_f64 v[36:37], v[82:83], s[8:9], -v[36:37]
	v_fma_f64 v[230:231], v[82:83], s[0:1], v[158:159]
	v_fma_f64 v[158:159], v[82:83], s[0:1], -v[158:159]
	;; [unrolled: 2-line block ×4, first 2 shown]
	v_fma_f64 v[236:237], v[94:95], s[8:9], -v[42:43]
	v_fma_f64 v[42:43], v[94:95], s[8:9], v[42:43]
	v_fma_f64 v[238:239], v[94:95], s[0:1], -v[164:165]
	v_fma_f64 v[164:165], v[94:95], s[0:1], v[164:165]
	;; [unrolled: 2-line block ×3, first 2 shown]
	v_fma_f64 v[72:73], v[82:83], s[4:5], v[80:81]
	v_fma_f64 v[80:81], v[82:83], s[4:5], -v[80:81]
	v_fma_f64 v[82:83], v[94:95], s[4:5], -v[92:93]
	v_fma_f64 v[92:93], v[94:95], s[4:5], v[92:93]
	v_add_f64 v[24:25], v[2:3], v[182:183]
	v_add_f64 v[52:53], v[0:1], v[184:185]
	;; [unrolled: 1-line block ×102, first 2 shown]
	v_add_co_ci_u32_e32 v55, vcc_lo, 0, v85, vcc_lo
	v_add_f64 v[34:35], v[210:211], v[70:71]
	v_add_f64 v[32:33], v[222:223], v[40:41]
	;; [unrolled: 1-line block ×8, first 2 shown]
	v_add_co_u32 v44, vcc_lo, 0x4800, v84
	v_add_co_ci_u32_e32 v45, vcc_lo, 0, v85, vcc_lo
	v_add_co_u32 v46, vcc_lo, 0x5000, v84
	v_add_co_ci_u32_e32 v47, vcc_lo, 0, v85, vcc_lo
	;; [unrolled: 2-line block ×4, first 2 shown]
	global_store_dwordx4 v[86:87], v[24:27], off offset:592
	global_store_dwordx4 v[90:91], v[20:23], off offset:1776
	global_store_dwordx4 v[108:109], v[12:15], off offset:320
	global_store_dwordx4 v[50:51], v[4:7], off offset:912
	global_store_dwordx4 v[54:55], v[0:3], off offset:1504
	global_store_dwordx4 v[44:45], v[8:11], off offset:48
	global_store_dwordx4 v[46:47], v[16:19], off offset:640
	global_store_dwordx4 v[88:89], v[36:39], off offset:1184
	global_store_dwordx4 v[48:49], v[32:35], off offset:1232
	global_store_dwordx4 v[84:85], v[40:43], off
	global_store_dwordx4 v[52:53], v[28:31], off offset:1824
.LBB0_21:
	s_endpgm
	.section	.rodata,"a",@progbits
	.p2align	6, 0x0
	.amdhsa_kernel fft_rtc_back_len1815_factors_11_3_5_11_wgs_165_tpt_165_dp_ip_CI_unitstride_sbrr_dirReg
		.amdhsa_group_segment_fixed_size 0
		.amdhsa_private_segment_fixed_size 0
		.amdhsa_kernarg_size 88
		.amdhsa_user_sgpr_count 6
		.amdhsa_user_sgpr_private_segment_buffer 1
		.amdhsa_user_sgpr_dispatch_ptr 0
		.amdhsa_user_sgpr_queue_ptr 0
		.amdhsa_user_sgpr_kernarg_segment_ptr 1
		.amdhsa_user_sgpr_dispatch_id 0
		.amdhsa_user_sgpr_flat_scratch_init 0
		.amdhsa_user_sgpr_private_segment_size 0
		.amdhsa_wavefront_size32 1
		.amdhsa_uses_dynamic_stack 0
		.amdhsa_system_sgpr_private_segment_wavefront_offset 0
		.amdhsa_system_sgpr_workgroup_id_x 1
		.amdhsa_system_sgpr_workgroup_id_y 0
		.amdhsa_system_sgpr_workgroup_id_z 0
		.amdhsa_system_sgpr_workgroup_info 0
		.amdhsa_system_vgpr_workitem_id 0
		.amdhsa_next_free_vgpr 250
		.amdhsa_next_free_sgpr 30
		.amdhsa_reserve_vcc 1
		.amdhsa_reserve_flat_scratch 0
		.amdhsa_float_round_mode_32 0
		.amdhsa_float_round_mode_16_64 0
		.amdhsa_float_denorm_mode_32 3
		.amdhsa_float_denorm_mode_16_64 3
		.amdhsa_dx10_clamp 1
		.amdhsa_ieee_mode 1
		.amdhsa_fp16_overflow 0
		.amdhsa_workgroup_processor_mode 1
		.amdhsa_memory_ordered 1
		.amdhsa_forward_progress 0
		.amdhsa_shared_vgpr_count 0
		.amdhsa_exception_fp_ieee_invalid_op 0
		.amdhsa_exception_fp_denorm_src 0
		.amdhsa_exception_fp_ieee_div_zero 0
		.amdhsa_exception_fp_ieee_overflow 0
		.amdhsa_exception_fp_ieee_underflow 0
		.amdhsa_exception_fp_ieee_inexact 0
		.amdhsa_exception_int_div_zero 0
	.end_amdhsa_kernel
	.text
.Lfunc_end0:
	.size	fft_rtc_back_len1815_factors_11_3_5_11_wgs_165_tpt_165_dp_ip_CI_unitstride_sbrr_dirReg, .Lfunc_end0-fft_rtc_back_len1815_factors_11_3_5_11_wgs_165_tpt_165_dp_ip_CI_unitstride_sbrr_dirReg
                                        ; -- End function
	.section	.AMDGPU.csdata,"",@progbits
; Kernel info:
; codeLenInByte = 11452
; NumSgprs: 32
; NumVgprs: 250
; ScratchSize: 0
; MemoryBound: 1
; FloatMode: 240
; IeeeMode: 1
; LDSByteSize: 0 bytes/workgroup (compile time only)
; SGPRBlocks: 3
; VGPRBlocks: 31
; NumSGPRsForWavesPerEU: 32
; NumVGPRsForWavesPerEU: 250
; Occupancy: 4
; WaveLimiterHint : 1
; COMPUTE_PGM_RSRC2:SCRATCH_EN: 0
; COMPUTE_PGM_RSRC2:USER_SGPR: 6
; COMPUTE_PGM_RSRC2:TRAP_HANDLER: 0
; COMPUTE_PGM_RSRC2:TGID_X_EN: 1
; COMPUTE_PGM_RSRC2:TGID_Y_EN: 0
; COMPUTE_PGM_RSRC2:TGID_Z_EN: 0
; COMPUTE_PGM_RSRC2:TIDIG_COMP_CNT: 0
	.text
	.p2alignl 6, 3214868480
	.fill 48, 4, 3214868480
	.type	__hip_cuid_f7eb2457624e8ccb,@object ; @__hip_cuid_f7eb2457624e8ccb
	.section	.bss,"aw",@nobits
	.globl	__hip_cuid_f7eb2457624e8ccb
__hip_cuid_f7eb2457624e8ccb:
	.byte	0                               ; 0x0
	.size	__hip_cuid_f7eb2457624e8ccb, 1

	.ident	"AMD clang version 19.0.0git (https://github.com/RadeonOpenCompute/llvm-project roc-6.4.0 25133 c7fe45cf4b819c5991fe208aaa96edf142730f1d)"
	.section	".note.GNU-stack","",@progbits
	.addrsig
	.addrsig_sym __hip_cuid_f7eb2457624e8ccb
	.amdgpu_metadata
---
amdhsa.kernels:
  - .args:
      - .actual_access:  read_only
        .address_space:  global
        .offset:         0
        .size:           8
        .value_kind:     global_buffer
      - .offset:         8
        .size:           8
        .value_kind:     by_value
      - .actual_access:  read_only
        .address_space:  global
        .offset:         16
        .size:           8
        .value_kind:     global_buffer
      - .actual_access:  read_only
        .address_space:  global
        .offset:         24
        .size:           8
        .value_kind:     global_buffer
      - .offset:         32
        .size:           8
        .value_kind:     by_value
      - .actual_access:  read_only
        .address_space:  global
        .offset:         40
        .size:           8
        .value_kind:     global_buffer
      - .actual_access:  read_only
        .address_space:  global
        .offset:         48
        .size:           8
        .value_kind:     global_buffer
      - .offset:         56
        .size:           4
        .value_kind:     by_value
      - .actual_access:  read_only
        .address_space:  global
        .offset:         64
        .size:           8
        .value_kind:     global_buffer
      - .actual_access:  read_only
        .address_space:  global
        .offset:         72
        .size:           8
        .value_kind:     global_buffer
      - .address_space:  global
        .offset:         80
        .size:           8
        .value_kind:     global_buffer
    .group_segment_fixed_size: 0
    .kernarg_segment_align: 8
    .kernarg_segment_size: 88
    .language:       OpenCL C
    .language_version:
      - 2
      - 0
    .max_flat_workgroup_size: 165
    .name:           fft_rtc_back_len1815_factors_11_3_5_11_wgs_165_tpt_165_dp_ip_CI_unitstride_sbrr_dirReg
    .private_segment_fixed_size: 0
    .sgpr_count:     32
    .sgpr_spill_count: 0
    .symbol:         fft_rtc_back_len1815_factors_11_3_5_11_wgs_165_tpt_165_dp_ip_CI_unitstride_sbrr_dirReg.kd
    .uniform_work_group_size: 1
    .uses_dynamic_stack: false
    .vgpr_count:     250
    .vgpr_spill_count: 0
    .wavefront_size: 32
    .workgroup_processor_mode: 1
amdhsa.target:   amdgcn-amd-amdhsa--gfx1030
amdhsa.version:
  - 1
  - 2
...

	.end_amdgpu_metadata
